;; amdgpu-corpus repo=ROCm/rocSPARSE kind=compiled arch=gfx1250 opt=O3
	.amdgcn_target "amdgcn-amd-amdhsa--gfx1250"
	.amdhsa_code_object_version 6
	.section	.text._ZN9rocsparseL22ell_width_kernel_part1ILj256EiiEEvT1_PKT0_PS1_,"axG",@progbits,_ZN9rocsparseL22ell_width_kernel_part1ILj256EiiEEvT1_PKT0_PS1_,comdat
	.globl	_ZN9rocsparseL22ell_width_kernel_part1ILj256EiiEEvT1_PKT0_PS1_ ; -- Begin function _ZN9rocsparseL22ell_width_kernel_part1ILj256EiiEEvT1_PKT0_PS1_
	.p2align	8
	.type	_ZN9rocsparseL22ell_width_kernel_part1ILj256EiiEEvT1_PKT0_PS1_,@function
_ZN9rocsparseL22ell_width_kernel_part1ILj256EiiEEvT1_PKT0_PS1_: ; @_ZN9rocsparseL22ell_width_kernel_part1ILj256EiiEEvT1_PKT0_PS1_
; %bb.0:
	s_clause 0x1
	s_load_b32 s3, s[0:1], 0x0
	s_load_b128 s[4:7], s[0:1], 0x8
	s_bfe_u32 s2, ttmp6, 0x4000c
	s_and_b32 s8, ttmp6, 15
	s_add_co_i32 s2, s2, 1
	s_getreg_b32 s9, hwreg(HW_REG_IB_STS2, 6, 4)
	s_mul_i32 s2, ttmp9, s2
	v_dual_lshlrev_b32 v1, 2, v0 :: v_dual_mov_b32 v3, 0
	s_add_co_i32 s8, s8, s2
	s_cmp_eq_u32 s9, 0
	s_mov_b32 s9, 0
	s_cselect_b32 s2, ttmp9, s8
	s_mov_b32 s8, exec_lo
	v_lshl_or_b32 v2, s2, 8, v0
	ds_store_b32 v1, v3
	s_wait_kmcnt 0x0
	v_cmpx_gt_u32_e64 s3, v2
	s_cbranch_execz .LBB0_4
; %bb.1:
	s_load_b32 s0, s[0:1], 0x18
	v_mov_b32_e32 v4, v3
	s_wait_kmcnt 0x0
	s_lshl_b32 s0, s0, 8
.LBB0_2:                                ; =>This Inner Loop Header: Depth=1
	v_lshl_add_u64 v[6:7], v[2:3], 2, s[4:5]
	global_load_b64 v[6:7], v[6:7], off
	s_wait_loadcnt 0x0
	v_sub_nc_u32_e32 v5, v7, v6
	s_delay_alu instid0(VALU_DEP_1) | instskip(NEXT) | instid1(VALU_DEP_1)
	v_dual_add_nc_u32 v2, s0, v2 :: v_dual_max_i32 v4, v4, v5
	v_cmp_le_u32_e32 vcc_lo, s3, v2
	s_or_b32 s9, vcc_lo, s9
	s_delay_alu instid0(SALU_CYCLE_1)
	s_and_not1_b32 exec_lo, exec_lo, s9
	s_cbranch_execnz .LBB0_2
; %bb.3:
	s_or_b32 exec_lo, exec_lo, s9
	ds_store_b32 v1, v4
.LBB0_4:
	s_or_b32 exec_lo, exec_lo, s8
	s_delay_alu instid0(SALU_CYCLE_1)
	s_mov_b32 s0, exec_lo
	s_wait_dscnt 0x0
	s_barrier_signal -1
	s_barrier_wait -1
	v_cmpx_gt_u32_e32 0x80, v0
	s_cbranch_execz .LBB0_6
; %bb.5:
	ds_load_2addr_stride64_b32 v[2:3], v1 offset1:2
	s_wait_dscnt 0x0
	v_max_i32_e32 v2, v2, v3
	ds_store_b32 v1, v2
.LBB0_6:
	s_or_b32 exec_lo, exec_lo, s0
	s_delay_alu instid0(SALU_CYCLE_1)
	s_mov_b32 s0, exec_lo
	s_wait_dscnt 0x0
	s_barrier_signal -1
	s_barrier_wait -1
	v_cmpx_gt_u32_e32 64, v0
	s_cbranch_execz .LBB0_8
; %bb.7:
	ds_load_2addr_stride64_b32 v[2:3], v1 offset1:1
	s_wait_dscnt 0x0
	v_max_i32_e32 v2, v2, v3
	ds_store_b32 v1, v2
.LBB0_8:
	s_or_b32 exec_lo, exec_lo, s0
	s_delay_alu instid0(SALU_CYCLE_1)
	s_mov_b32 s0, exec_lo
	s_wait_dscnt 0x0
	s_barrier_signal -1
	s_barrier_wait -1
	v_cmpx_gt_u32_e32 32, v0
	s_cbranch_execz .LBB0_10
; %bb.9:
	ds_load_2addr_b32 v[2:3], v1 offset1:32
	s_wait_dscnt 0x0
	v_max_i32_e32 v2, v2, v3
	ds_store_b32 v1, v2
.LBB0_10:
	s_or_b32 exec_lo, exec_lo, s0
	s_delay_alu instid0(SALU_CYCLE_1)
	s_mov_b32 s0, exec_lo
	s_wait_dscnt 0x0
	s_barrier_signal -1
	s_barrier_wait -1
	v_cmpx_gt_u32_e32 16, v0
	s_cbranch_execz .LBB0_12
; %bb.11:
	ds_load_2addr_b32 v[2:3], v1 offset1:16
	s_wait_dscnt 0x0
	v_max_i32_e32 v2, v2, v3
	ds_store_b32 v1, v2
.LBB0_12:
	;; [unrolled: 14-line block ×5, first 2 shown]
	s_or_b32 exec_lo, exec_lo, s0
	v_cmp_eq_u32_e32 vcc_lo, 0, v0
	s_wait_dscnt 0x0
	s_barrier_signal -1
	s_barrier_wait -1
	s_and_saveexec_b32 s0, vcc_lo
	s_cbranch_execz .LBB0_20
; %bb.19:
	v_mov_b32_e32 v2, 0
	ds_load_b64 v[0:1], v2
	s_wait_dscnt 0x0
	v_max_i32_e32 v0, v0, v1
	ds_store_b32 v2, v0
.LBB0_20:
	s_or_b32 exec_lo, exec_lo, s0
	s_wait_dscnt 0x0
	s_barrier_signal -1
	s_barrier_wait -1
	s_and_saveexec_b32 s0, vcc_lo
	s_cbranch_execz .LBB0_22
; %bb.21:
	v_dual_mov_b32 v0, 0 :: v_dual_mov_b32 v1, s2
	ds_load_b32 v0, v0
	s_wait_dscnt 0x0
	global_store_b32 v1, v0, s[6:7] scale_offset
.LBB0_22:
	s_endpgm
	.section	.rodata,"a",@progbits
	.p2align	6, 0x0
	.amdhsa_kernel _ZN9rocsparseL22ell_width_kernel_part1ILj256EiiEEvT1_PKT0_PS1_
		.amdhsa_group_segment_fixed_size 1024
		.amdhsa_private_segment_fixed_size 0
		.amdhsa_kernarg_size 280
		.amdhsa_user_sgpr_count 2
		.amdhsa_user_sgpr_dispatch_ptr 0
		.amdhsa_user_sgpr_queue_ptr 0
		.amdhsa_user_sgpr_kernarg_segment_ptr 1
		.amdhsa_user_sgpr_dispatch_id 0
		.amdhsa_user_sgpr_kernarg_preload_length 0
		.amdhsa_user_sgpr_kernarg_preload_offset 0
		.amdhsa_user_sgpr_private_segment_size 0
		.amdhsa_wavefront_size32 1
		.amdhsa_uses_dynamic_stack 0
		.amdhsa_enable_private_segment 0
		.amdhsa_system_sgpr_workgroup_id_x 1
		.amdhsa_system_sgpr_workgroup_id_y 0
		.amdhsa_system_sgpr_workgroup_id_z 0
		.amdhsa_system_sgpr_workgroup_info 0
		.amdhsa_system_vgpr_workitem_id 0
		.amdhsa_next_free_vgpr 8
		.amdhsa_next_free_sgpr 10
		.amdhsa_named_barrier_count 0
		.amdhsa_reserve_vcc 1
		.amdhsa_float_round_mode_32 0
		.amdhsa_float_round_mode_16_64 0
		.amdhsa_float_denorm_mode_32 3
		.amdhsa_float_denorm_mode_16_64 3
		.amdhsa_fp16_overflow 0
		.amdhsa_memory_ordered 1
		.amdhsa_forward_progress 1
		.amdhsa_inst_pref_size 6
		.amdhsa_round_robin_scheduling 0
		.amdhsa_exception_fp_ieee_invalid_op 0
		.amdhsa_exception_fp_denorm_src 0
		.amdhsa_exception_fp_ieee_div_zero 0
		.amdhsa_exception_fp_ieee_overflow 0
		.amdhsa_exception_fp_ieee_underflow 0
		.amdhsa_exception_fp_ieee_inexact 0
		.amdhsa_exception_int_div_zero 0
	.end_amdhsa_kernel
	.section	.text._ZN9rocsparseL22ell_width_kernel_part1ILj256EiiEEvT1_PKT0_PS1_,"axG",@progbits,_ZN9rocsparseL22ell_width_kernel_part1ILj256EiiEEvT1_PKT0_PS1_,comdat
.Lfunc_end0:
	.size	_ZN9rocsparseL22ell_width_kernel_part1ILj256EiiEEvT1_PKT0_PS1_, .Lfunc_end0-_ZN9rocsparseL22ell_width_kernel_part1ILj256EiiEEvT1_PKT0_PS1_
                                        ; -- End function
	.set _ZN9rocsparseL22ell_width_kernel_part1ILj256EiiEEvT1_PKT0_PS1_.num_vgpr, 8
	.set _ZN9rocsparseL22ell_width_kernel_part1ILj256EiiEEvT1_PKT0_PS1_.num_agpr, 0
	.set _ZN9rocsparseL22ell_width_kernel_part1ILj256EiiEEvT1_PKT0_PS1_.numbered_sgpr, 10
	.set _ZN9rocsparseL22ell_width_kernel_part1ILj256EiiEEvT1_PKT0_PS1_.num_named_barrier, 0
	.set _ZN9rocsparseL22ell_width_kernel_part1ILj256EiiEEvT1_PKT0_PS1_.private_seg_size, 0
	.set _ZN9rocsparseL22ell_width_kernel_part1ILj256EiiEEvT1_PKT0_PS1_.uses_vcc, 1
	.set _ZN9rocsparseL22ell_width_kernel_part1ILj256EiiEEvT1_PKT0_PS1_.uses_flat_scratch, 0
	.set _ZN9rocsparseL22ell_width_kernel_part1ILj256EiiEEvT1_PKT0_PS1_.has_dyn_sized_stack, 0
	.set _ZN9rocsparseL22ell_width_kernel_part1ILj256EiiEEvT1_PKT0_PS1_.has_recursion, 0
	.set _ZN9rocsparseL22ell_width_kernel_part1ILj256EiiEEvT1_PKT0_PS1_.has_indirect_call, 0
	.section	.AMDGPU.csdata,"",@progbits
; Kernel info:
; codeLenInByte = 716
; TotalNumSgprs: 12
; NumVgprs: 8
; ScratchSize: 0
; MemoryBound: 0
; FloatMode: 240
; IeeeMode: 1
; LDSByteSize: 1024 bytes/workgroup (compile time only)
; SGPRBlocks: 0
; VGPRBlocks: 0
; NumSGPRsForWavesPerEU: 12
; NumVGPRsForWavesPerEU: 8
; NamedBarCnt: 0
; Occupancy: 16
; WaveLimiterHint : 0
; COMPUTE_PGM_RSRC2:SCRATCH_EN: 0
; COMPUTE_PGM_RSRC2:USER_SGPR: 2
; COMPUTE_PGM_RSRC2:TRAP_HANDLER: 0
; COMPUTE_PGM_RSRC2:TGID_X_EN: 1
; COMPUTE_PGM_RSRC2:TGID_Y_EN: 0
; COMPUTE_PGM_RSRC2:TGID_Z_EN: 0
; COMPUTE_PGM_RSRC2:TIDIG_COMP_CNT: 0
	.section	.text._ZN9rocsparseL22ell_width_kernel_part2ILj256EiEEvT0_PS1_,"axG",@progbits,_ZN9rocsparseL22ell_width_kernel_part2ILj256EiEEvT0_PS1_,comdat
	.globl	_ZN9rocsparseL22ell_width_kernel_part2ILj256EiEEvT0_PS1_ ; -- Begin function _ZN9rocsparseL22ell_width_kernel_part2ILj256EiEEvT0_PS1_
	.p2align	8
	.type	_ZN9rocsparseL22ell_width_kernel_part2ILj256EiEEvT0_PS1_,@function
_ZN9rocsparseL22ell_width_kernel_part2ILj256EiEEvT0_PS1_: ; @_ZN9rocsparseL22ell_width_kernel_part2ILj256EiEEvT0_PS1_
; %bb.0:
	s_clause 0x1
	s_load_b32 s4, s[0:1], 0x0
	s_load_b64 s[2:3], s[0:1], 0x8
	v_dual_mov_b32 v1, 0 :: v_dual_lshlrev_b32 v6, 2, v0
	s_wait_xcnt 0x0
	s_mov_b32 s0, exec_lo
	ds_store_b32 v6, v1
	s_wait_kmcnt 0x0
	v_cmpx_gt_u32_e64 s4, v0
	s_cbranch_execz .LBB1_12
; %bb.1:
	v_xad_u32 v3, v0, -1, s4
	v_mov_b32_e32 v2, v0
	s_mov_b32 s7, -1
	s_mov_b32 s5, exec_lo
	s_delay_alu instid0(VALU_DEP_2)
	v_cmp_gt_u32_e64 s1, 0x1700, v3
	v_cmpx_lt_u32_e32 0x16ff, v3
	s_cbranch_execz .LBB1_7
; %bb.2:
	v_subrev_nc_u32_e32 v1, s4, v0
	s_delay_alu instid0(VALU_DEP_1) | instskip(SKIP_1) | instid1(VALU_DEP_2)
	v_or_b32_e32 v2, 0xff, v1
	v_mov_b32_e32 v1, 0
	v_cmp_ge_u32_e32 vcc_lo, v2, v0
	v_mov_b32_e32 v2, v0
	s_and_saveexec_b32 s6, vcc_lo
	s_cbranch_execz .LBB1_6
; %bb.3:
	v_dual_lshrrev_b32 v1, 8, v3 :: v_dual_mov_b32 v3, 0
	s_mov_b32 s7, 0
	s_delay_alu instid0(VALU_DEP_1) | instskip(SKIP_1) | instid1(VALU_DEP_2)
	v_dual_mov_b32 v9, 0 :: v_dual_add_nc_u32 v7, 1, v1
	v_or_b32_e32 v1, 0x100, v0
	v_and_b32_e32 v8, 0x1fffffe, v7
	s_delay_alu instid0(VALU_DEP_2) | instskip(NEXT) | instid1(VALU_DEP_2)
	v_mov_b64_e32 v[4:5], v[0:1]
	v_dual_mov_b32 v1, 0 :: v_dual_mov_b32 v10, v8
.LBB1_4:                                ; =>This Inner Loop Header: Depth=1
	s_delay_alu instid0(VALU_DEP_1) | instskip(SKIP_1) | instid1(VALU_DEP_2)
	v_dual_mov_b32 v2, v4 :: v_dual_add_nc_u32 v10, -2, v10
	v_add_nc_u32_e32 v4, 0x200, v4
	v_lshl_add_u64 v[12:13], v[2:3], 2, s[2:3]
	v_dual_mov_b32 v2, v5 :: v_dual_add_nc_u32 v5, 0x200, v5
	s_delay_alu instid0(VALU_DEP_4) | instskip(NEXT) | instid1(VALU_DEP_2)
	v_cmp_eq_u32_e32 vcc_lo, 0, v10
	v_lshl_add_u64 v[14:15], v[2:3], 2, s[2:3]
	s_clause 0x1
	global_load_b32 v2, v[12:13], off
	global_load_b32 v11, v[14:15], off
	s_or_b32 s7, vcc_lo, s7
	s_wait_loadcnt 0x1
	v_max_i32_e32 v1, v1, v2
	s_wait_loadcnt 0x0
	v_max_i32_e32 v9, v9, v11
	s_and_not1_b32 exec_lo, exec_lo, s7
	s_cbranch_execnz .LBB1_4
; %bb.5:
	s_or_b32 exec_lo, exec_lo, s7
	v_cmp_ne_u32_e32 vcc_lo, v7, v8
	v_lshl_or_b32 v2, v8, 8, v0
	v_max_i32_e32 v1, v1, v9
	s_or_not1_b32 s7, vcc_lo, exec_lo
.LBB1_6:
	s_or_b32 exec_lo, exec_lo, s6
	s_delay_alu instid0(SALU_CYCLE_1) | instskip(SKIP_1) | instid1(SALU_CYCLE_1)
	s_and_not1_b32 s1, s1, exec_lo
	s_and_b32 s6, s7, exec_lo
	s_or_b32 s1, s1, s6
.LBB1_7:
	s_or_b32 exec_lo, exec_lo, s5
	s_and_saveexec_b32 s5, s1
	s_cbranch_execz .LBB1_11
; %bb.8:
	s_mov_b32 s1, 0
.LBB1_9:                                ; =>This Inner Loop Header: Depth=1
	global_load_b32 v3, v2, s[2:3] scale_offset
	s_wait_xcnt 0x0
	v_add_nc_u32_e32 v2, 0x100, v2
	s_delay_alu instid0(VALU_DEP_1)
	v_cmp_le_u32_e32 vcc_lo, s4, v2
	s_or_b32 s1, vcc_lo, s1
	s_wait_loadcnt 0x0
	v_max_i32_e32 v1, v1, v3
	s_and_not1_b32 exec_lo, exec_lo, s1
	s_cbranch_execnz .LBB1_9
; %bb.10:
	s_or_b32 exec_lo, exec_lo, s1
.LBB1_11:
	s_delay_alu instid0(SALU_CYCLE_1)
	s_or_b32 exec_lo, exec_lo, s5
	ds_store_b32 v6, v1
.LBB1_12:
	s_or_b32 exec_lo, exec_lo, s0
	s_delay_alu instid0(SALU_CYCLE_1)
	s_mov_b32 s0, exec_lo
	s_wait_dscnt 0x0
	s_barrier_signal -1
	s_barrier_wait -1
	v_cmpx_gt_u32_e32 0x80, v0
	s_cbranch_execz .LBB1_14
; %bb.13:
	ds_load_2addr_stride64_b32 v[2:3], v6 offset1:2
	s_wait_dscnt 0x0
	v_max_i32_e32 v1, v2, v3
	ds_store_b32 v6, v1
.LBB1_14:
	s_or_b32 exec_lo, exec_lo, s0
	s_delay_alu instid0(SALU_CYCLE_1)
	s_mov_b32 s0, exec_lo
	s_wait_dscnt 0x0
	s_barrier_signal -1
	s_barrier_wait -1
	v_cmpx_gt_u32_e32 64, v0
	s_cbranch_execz .LBB1_16
; %bb.15:
	ds_load_2addr_stride64_b32 v[2:3], v6 offset1:1
	s_wait_dscnt 0x0
	v_max_i32_e32 v1, v2, v3
	ds_store_b32 v6, v1
.LBB1_16:
	s_or_b32 exec_lo, exec_lo, s0
	s_delay_alu instid0(SALU_CYCLE_1)
	s_mov_b32 s0, exec_lo
	s_wait_dscnt 0x0
	s_barrier_signal -1
	s_barrier_wait -1
	v_cmpx_gt_u32_e32 32, v0
	s_cbranch_execz .LBB1_18
; %bb.17:
	ds_load_2addr_b32 v[2:3], v6 offset1:32
	s_wait_dscnt 0x0
	v_max_i32_e32 v1, v2, v3
	ds_store_b32 v6, v1
.LBB1_18:
	s_or_b32 exec_lo, exec_lo, s0
	s_delay_alu instid0(SALU_CYCLE_1)
	s_mov_b32 s0, exec_lo
	s_wait_dscnt 0x0
	s_barrier_signal -1
	s_barrier_wait -1
	v_cmpx_gt_u32_e32 16, v0
	s_cbranch_execz .LBB1_20
; %bb.19:
	ds_load_2addr_b32 v[2:3], v6 offset1:16
	s_wait_dscnt 0x0
	v_max_i32_e32 v1, v2, v3
	ds_store_b32 v6, v1
.LBB1_20:
	;; [unrolled: 14-line block ×5, first 2 shown]
	s_or_b32 exec_lo, exec_lo, s0
	v_cmp_eq_u32_e32 vcc_lo, 0, v0
	s_wait_dscnt 0x0
	s_barrier_signal -1
	s_barrier_wait -1
	s_and_saveexec_b32 s0, vcc_lo
	s_cbranch_execz .LBB1_28
; %bb.27:
	v_mov_b32_e32 v2, 0
	ds_load_b64 v[0:1], v2
	s_wait_dscnt 0x0
	v_max_i32_e32 v0, v0, v1
	ds_store_b32 v2, v0
.LBB1_28:
	s_or_b32 exec_lo, exec_lo, s0
	s_wait_dscnt 0x0
	s_barrier_signal -1
	s_barrier_wait -1
	s_and_saveexec_b32 s0, vcc_lo
	s_cbranch_execz .LBB1_30
; %bb.29:
	v_mov_b32_e32 v0, 0
	ds_load_b32 v1, v0
	s_wait_dscnt 0x0
	global_store_b32 v0, v1, s[2:3]
.LBB1_30:
	s_endpgm
	.section	.rodata,"a",@progbits
	.p2align	6, 0x0
	.amdhsa_kernel _ZN9rocsparseL22ell_width_kernel_part2ILj256EiEEvT0_PS1_
		.amdhsa_group_segment_fixed_size 1024
		.amdhsa_private_segment_fixed_size 0
		.amdhsa_kernarg_size 16
		.amdhsa_user_sgpr_count 2
		.amdhsa_user_sgpr_dispatch_ptr 0
		.amdhsa_user_sgpr_queue_ptr 0
		.amdhsa_user_sgpr_kernarg_segment_ptr 1
		.amdhsa_user_sgpr_dispatch_id 0
		.amdhsa_user_sgpr_kernarg_preload_length 0
		.amdhsa_user_sgpr_kernarg_preload_offset 0
		.amdhsa_user_sgpr_private_segment_size 0
		.amdhsa_wavefront_size32 1
		.amdhsa_uses_dynamic_stack 0
		.amdhsa_enable_private_segment 0
		.amdhsa_system_sgpr_workgroup_id_x 1
		.amdhsa_system_sgpr_workgroup_id_y 0
		.amdhsa_system_sgpr_workgroup_id_z 0
		.amdhsa_system_sgpr_workgroup_info 0
		.amdhsa_system_vgpr_workitem_id 0
		.amdhsa_next_free_vgpr 16
		.amdhsa_next_free_sgpr 8
		.amdhsa_named_barrier_count 0
		.amdhsa_reserve_vcc 1
		.amdhsa_float_round_mode_32 0
		.amdhsa_float_round_mode_16_64 0
		.amdhsa_float_denorm_mode_32 3
		.amdhsa_float_denorm_mode_16_64 3
		.amdhsa_fp16_overflow 0
		.amdhsa_memory_ordered 1
		.amdhsa_forward_progress 1
		.amdhsa_inst_pref_size 8
		.amdhsa_round_robin_scheduling 0
		.amdhsa_exception_fp_ieee_invalid_op 0
		.amdhsa_exception_fp_denorm_src 0
		.amdhsa_exception_fp_ieee_div_zero 0
		.amdhsa_exception_fp_ieee_overflow 0
		.amdhsa_exception_fp_ieee_underflow 0
		.amdhsa_exception_fp_ieee_inexact 0
		.amdhsa_exception_int_div_zero 0
	.end_amdhsa_kernel
	.section	.text._ZN9rocsparseL22ell_width_kernel_part2ILj256EiEEvT0_PS1_,"axG",@progbits,_ZN9rocsparseL22ell_width_kernel_part2ILj256EiEEvT0_PS1_,comdat
.Lfunc_end1:
	.size	_ZN9rocsparseL22ell_width_kernel_part2ILj256EiEEvT0_PS1_, .Lfunc_end1-_ZN9rocsparseL22ell_width_kernel_part2ILj256EiEEvT0_PS1_
                                        ; -- End function
	.set _ZN9rocsparseL22ell_width_kernel_part2ILj256EiEEvT0_PS1_.num_vgpr, 16
	.set _ZN9rocsparseL22ell_width_kernel_part2ILj256EiEEvT0_PS1_.num_agpr, 0
	.set _ZN9rocsparseL22ell_width_kernel_part2ILj256EiEEvT0_PS1_.numbered_sgpr, 8
	.set _ZN9rocsparseL22ell_width_kernel_part2ILj256EiEEvT0_PS1_.num_named_barrier, 0
	.set _ZN9rocsparseL22ell_width_kernel_part2ILj256EiEEvT0_PS1_.private_seg_size, 0
	.set _ZN9rocsparseL22ell_width_kernel_part2ILj256EiEEvT0_PS1_.uses_vcc, 1
	.set _ZN9rocsparseL22ell_width_kernel_part2ILj256EiEEvT0_PS1_.uses_flat_scratch, 0
	.set _ZN9rocsparseL22ell_width_kernel_part2ILj256EiEEvT0_PS1_.has_dyn_sized_stack, 0
	.set _ZN9rocsparseL22ell_width_kernel_part2ILj256EiEEvT0_PS1_.has_recursion, 0
	.set _ZN9rocsparseL22ell_width_kernel_part2ILj256EiEEvT0_PS1_.has_indirect_call, 0
	.section	.AMDGPU.csdata,"",@progbits
; Kernel info:
; codeLenInByte = 964
; TotalNumSgprs: 10
; NumVgprs: 16
; ScratchSize: 0
; MemoryBound: 0
; FloatMode: 240
; IeeeMode: 1
; LDSByteSize: 1024 bytes/workgroup (compile time only)
; SGPRBlocks: 0
; VGPRBlocks: 0
; NumSGPRsForWavesPerEU: 10
; NumVGPRsForWavesPerEU: 16
; NamedBarCnt: 0
; Occupancy: 16
; WaveLimiterHint : 0
; COMPUTE_PGM_RSRC2:SCRATCH_EN: 0
; COMPUTE_PGM_RSRC2:USER_SGPR: 2
; COMPUTE_PGM_RSRC2:TRAP_HANDLER: 0
; COMPUTE_PGM_RSRC2:TGID_X_EN: 1
; COMPUTE_PGM_RSRC2:TGID_Y_EN: 0
; COMPUTE_PGM_RSRC2:TGID_Z_EN: 0
; COMPUTE_PGM_RSRC2:TIDIG_COMP_CNT: 0
	.section	.text._ZN9rocsparseL22ell_width_kernel_part1ILj256EliEEvT1_PKT0_PS1_,"axG",@progbits,_ZN9rocsparseL22ell_width_kernel_part1ILj256EliEEvT1_PKT0_PS1_,comdat
	.globl	_ZN9rocsparseL22ell_width_kernel_part1ILj256EliEEvT1_PKT0_PS1_ ; -- Begin function _ZN9rocsparseL22ell_width_kernel_part1ILj256EliEEvT1_PKT0_PS1_
	.p2align	8
	.type	_ZN9rocsparseL22ell_width_kernel_part1ILj256EliEEvT1_PKT0_PS1_,@function
_ZN9rocsparseL22ell_width_kernel_part1ILj256EliEEvT1_PKT0_PS1_: ; @_ZN9rocsparseL22ell_width_kernel_part1ILj256EliEEvT1_PKT0_PS1_
; %bb.0:
	s_clause 0x1
	s_load_b32 s3, s[0:1], 0x0
	s_load_b128 s[4:7], s[0:1], 0x8
	s_bfe_u32 s2, ttmp6, 0x4000c
	s_and_b32 s8, ttmp6, 15
	s_add_co_i32 s2, s2, 1
	s_getreg_b32 s9, hwreg(HW_REG_IB_STS2, 6, 4)
	s_mul_i32 s2, ttmp9, s2
	v_dual_lshlrev_b32 v1, 2, v0 :: v_dual_mov_b32 v3, 0
	s_add_co_i32 s8, s8, s2
	s_cmp_eq_u32 s9, 0
	s_mov_b32 s9, 0
	s_cselect_b32 s2, ttmp9, s8
	s_mov_b32 s8, exec_lo
	v_lshl_or_b32 v2, s2, 8, v0
	ds_store_b32 v1, v3
	s_wait_kmcnt 0x0
	v_cmpx_gt_u32_e64 s3, v2
	s_cbranch_execz .LBB2_4
; %bb.1:
	s_load_b32 s0, s[0:1], 0x18
	v_mov_b32_e32 v4, v3
	s_wait_kmcnt 0x0
	s_lshl_b32 s0, s0, 8
.LBB2_2:                                ; =>This Inner Loop Header: Depth=1
	v_lshl_add_u64 v[6:7], v[2:3], 3, s[4:5]
	global_load_b128 v[6:9], v[6:7], off
	s_wait_loadcnt 0x0
	v_sub_nc_u32_e32 v5, v8, v6
	s_delay_alu instid0(VALU_DEP_1) | instskip(NEXT) | instid1(VALU_DEP_1)
	v_dual_add_nc_u32 v2, s0, v2 :: v_dual_max_i32 v4, v4, v5
	v_cmp_le_u32_e32 vcc_lo, s3, v2
	s_or_b32 s9, vcc_lo, s9
	s_wait_xcnt 0x0
	s_and_not1_b32 exec_lo, exec_lo, s9
	s_cbranch_execnz .LBB2_2
; %bb.3:
	s_or_b32 exec_lo, exec_lo, s9
	ds_store_b32 v1, v4
.LBB2_4:
	s_or_b32 exec_lo, exec_lo, s8
	s_delay_alu instid0(SALU_CYCLE_1)
	s_mov_b32 s0, exec_lo
	s_wait_dscnt 0x0
	s_barrier_signal -1
	s_barrier_wait -1
	v_cmpx_gt_u32_e32 0x80, v0
	s_cbranch_execz .LBB2_6
; %bb.5:
	ds_load_2addr_stride64_b32 v[2:3], v1 offset1:2
	s_wait_dscnt 0x0
	v_max_i32_e32 v2, v2, v3
	ds_store_b32 v1, v2
.LBB2_6:
	s_or_b32 exec_lo, exec_lo, s0
	s_delay_alu instid0(SALU_CYCLE_1)
	s_mov_b32 s0, exec_lo
	s_wait_dscnt 0x0
	s_barrier_signal -1
	s_barrier_wait -1
	v_cmpx_gt_u32_e32 64, v0
	s_cbranch_execz .LBB2_8
; %bb.7:
	ds_load_2addr_stride64_b32 v[2:3], v1 offset1:1
	s_wait_dscnt 0x0
	v_max_i32_e32 v2, v2, v3
	ds_store_b32 v1, v2
.LBB2_8:
	s_or_b32 exec_lo, exec_lo, s0
	s_delay_alu instid0(SALU_CYCLE_1)
	s_mov_b32 s0, exec_lo
	s_wait_dscnt 0x0
	s_barrier_signal -1
	s_barrier_wait -1
	v_cmpx_gt_u32_e32 32, v0
	s_cbranch_execz .LBB2_10
; %bb.9:
	ds_load_2addr_b32 v[2:3], v1 offset1:32
	s_wait_dscnt 0x0
	v_max_i32_e32 v2, v2, v3
	ds_store_b32 v1, v2
.LBB2_10:
	s_or_b32 exec_lo, exec_lo, s0
	s_delay_alu instid0(SALU_CYCLE_1)
	s_mov_b32 s0, exec_lo
	s_wait_dscnt 0x0
	s_barrier_signal -1
	s_barrier_wait -1
	v_cmpx_gt_u32_e32 16, v0
	s_cbranch_execz .LBB2_12
; %bb.11:
	ds_load_2addr_b32 v[2:3], v1 offset1:16
	s_wait_dscnt 0x0
	v_max_i32_e32 v2, v2, v3
	ds_store_b32 v1, v2
.LBB2_12:
	;; [unrolled: 14-line block ×5, first 2 shown]
	s_or_b32 exec_lo, exec_lo, s0
	v_cmp_eq_u32_e32 vcc_lo, 0, v0
	s_wait_dscnt 0x0
	s_barrier_signal -1
	s_barrier_wait -1
	s_and_saveexec_b32 s0, vcc_lo
	s_cbranch_execz .LBB2_20
; %bb.19:
	v_mov_b32_e32 v2, 0
	ds_load_b64 v[0:1], v2
	s_wait_dscnt 0x0
	v_max_i32_e32 v0, v0, v1
	ds_store_b32 v2, v0
.LBB2_20:
	s_or_b32 exec_lo, exec_lo, s0
	s_wait_dscnt 0x0
	s_barrier_signal -1
	s_barrier_wait -1
	s_and_saveexec_b32 s0, vcc_lo
	s_cbranch_execz .LBB2_22
; %bb.21:
	v_dual_mov_b32 v0, 0 :: v_dual_mov_b32 v1, s2
	ds_load_b32 v0, v0
	s_wait_dscnt 0x0
	global_store_b32 v1, v0, s[6:7] scale_offset
.LBB2_22:
	s_endpgm
	.section	.rodata,"a",@progbits
	.p2align	6, 0x0
	.amdhsa_kernel _ZN9rocsparseL22ell_width_kernel_part1ILj256EliEEvT1_PKT0_PS1_
		.amdhsa_group_segment_fixed_size 1024
		.amdhsa_private_segment_fixed_size 0
		.amdhsa_kernarg_size 280
		.amdhsa_user_sgpr_count 2
		.amdhsa_user_sgpr_dispatch_ptr 0
		.amdhsa_user_sgpr_queue_ptr 0
		.amdhsa_user_sgpr_kernarg_segment_ptr 1
		.amdhsa_user_sgpr_dispatch_id 0
		.amdhsa_user_sgpr_kernarg_preload_length 0
		.amdhsa_user_sgpr_kernarg_preload_offset 0
		.amdhsa_user_sgpr_private_segment_size 0
		.amdhsa_wavefront_size32 1
		.amdhsa_uses_dynamic_stack 0
		.amdhsa_enable_private_segment 0
		.amdhsa_system_sgpr_workgroup_id_x 1
		.amdhsa_system_sgpr_workgroup_id_y 0
		.amdhsa_system_sgpr_workgroup_id_z 0
		.amdhsa_system_sgpr_workgroup_info 0
		.amdhsa_system_vgpr_workitem_id 0
		.amdhsa_next_free_vgpr 10
		.amdhsa_next_free_sgpr 10
		.amdhsa_named_barrier_count 0
		.amdhsa_reserve_vcc 1
		.amdhsa_float_round_mode_32 0
		.amdhsa_float_round_mode_16_64 0
		.amdhsa_float_denorm_mode_32 3
		.amdhsa_float_denorm_mode_16_64 3
		.amdhsa_fp16_overflow 0
		.amdhsa_memory_ordered 1
		.amdhsa_forward_progress 1
		.amdhsa_inst_pref_size 6
		.amdhsa_round_robin_scheduling 0
		.amdhsa_exception_fp_ieee_invalid_op 0
		.amdhsa_exception_fp_denorm_src 0
		.amdhsa_exception_fp_ieee_div_zero 0
		.amdhsa_exception_fp_ieee_overflow 0
		.amdhsa_exception_fp_ieee_underflow 0
		.amdhsa_exception_fp_ieee_inexact 0
		.amdhsa_exception_int_div_zero 0
	.end_amdhsa_kernel
	.section	.text._ZN9rocsparseL22ell_width_kernel_part1ILj256EliEEvT1_PKT0_PS1_,"axG",@progbits,_ZN9rocsparseL22ell_width_kernel_part1ILj256EliEEvT1_PKT0_PS1_,comdat
.Lfunc_end2:
	.size	_ZN9rocsparseL22ell_width_kernel_part1ILj256EliEEvT1_PKT0_PS1_, .Lfunc_end2-_ZN9rocsparseL22ell_width_kernel_part1ILj256EliEEvT1_PKT0_PS1_
                                        ; -- End function
	.set _ZN9rocsparseL22ell_width_kernel_part1ILj256EliEEvT1_PKT0_PS1_.num_vgpr, 10
	.set _ZN9rocsparseL22ell_width_kernel_part1ILj256EliEEvT1_PKT0_PS1_.num_agpr, 0
	.set _ZN9rocsparseL22ell_width_kernel_part1ILj256EliEEvT1_PKT0_PS1_.numbered_sgpr, 10
	.set _ZN9rocsparseL22ell_width_kernel_part1ILj256EliEEvT1_PKT0_PS1_.num_named_barrier, 0
	.set _ZN9rocsparseL22ell_width_kernel_part1ILj256EliEEvT1_PKT0_PS1_.private_seg_size, 0
	.set _ZN9rocsparseL22ell_width_kernel_part1ILj256EliEEvT1_PKT0_PS1_.uses_vcc, 1
	.set _ZN9rocsparseL22ell_width_kernel_part1ILj256EliEEvT1_PKT0_PS1_.uses_flat_scratch, 0
	.set _ZN9rocsparseL22ell_width_kernel_part1ILj256EliEEvT1_PKT0_PS1_.has_dyn_sized_stack, 0
	.set _ZN9rocsparseL22ell_width_kernel_part1ILj256EliEEvT1_PKT0_PS1_.has_recursion, 0
	.set _ZN9rocsparseL22ell_width_kernel_part1ILj256EliEEvT1_PKT0_PS1_.has_indirect_call, 0
	.section	.AMDGPU.csdata,"",@progbits
; Kernel info:
; codeLenInByte = 716
; TotalNumSgprs: 12
; NumVgprs: 10
; ScratchSize: 0
; MemoryBound: 0
; FloatMode: 240
; IeeeMode: 1
; LDSByteSize: 1024 bytes/workgroup (compile time only)
; SGPRBlocks: 0
; VGPRBlocks: 0
; NumSGPRsForWavesPerEU: 12
; NumVGPRsForWavesPerEU: 10
; NamedBarCnt: 0
; Occupancy: 16
; WaveLimiterHint : 0
; COMPUTE_PGM_RSRC2:SCRATCH_EN: 0
; COMPUTE_PGM_RSRC2:USER_SGPR: 2
; COMPUTE_PGM_RSRC2:TRAP_HANDLER: 0
; COMPUTE_PGM_RSRC2:TGID_X_EN: 1
; COMPUTE_PGM_RSRC2:TGID_Y_EN: 0
; COMPUTE_PGM_RSRC2:TGID_Z_EN: 0
; COMPUTE_PGM_RSRC2:TIDIG_COMP_CNT: 0
	.section	.text._ZN9rocsparseL22ell_width_kernel_part1ILj256EilEEvT1_PKT0_PS1_,"axG",@progbits,_ZN9rocsparseL22ell_width_kernel_part1ILj256EilEEvT1_PKT0_PS1_,comdat
	.globl	_ZN9rocsparseL22ell_width_kernel_part1ILj256EilEEvT1_PKT0_PS1_ ; -- Begin function _ZN9rocsparseL22ell_width_kernel_part1ILj256EilEEvT1_PKT0_PS1_
	.p2align	8
	.type	_ZN9rocsparseL22ell_width_kernel_part1ILj256EilEEvT1_PKT0_PS1_,@function
_ZN9rocsparseL22ell_width_kernel_part1ILj256EilEEvT1_PKT0_PS1_: ; @_ZN9rocsparseL22ell_width_kernel_part1ILj256EilEEvT1_PKT0_PS1_
; %bb.0:
	s_clause 0x1
	s_load_b128 s[4:7], s[0:1], 0x0
	s_load_b64 s[2:3], s[0:1], 0x10
	s_bfe_u32 s8, ttmp6, 0x4000c
	s_and_b32 s9, ttmp6, 15
	s_add_co_i32 s8, s8, 1
	s_getreg_b32 s10, hwreg(HW_REG_IB_STS2, 6, 4)
	s_mul_i32 s8, ttmp9, s8
	v_mov_b64_e32 v[4:5], 0
	s_add_co_i32 s9, s9, s8
	s_cmp_eq_u32 s10, 0
	v_dual_mov_b32 v3, 0 :: v_dual_lshlrev_b32 v1, 3, v0
	s_cselect_b32 s8, ttmp9, s9
	s_mov_b32 s10, 0
	v_lshl_or_b32 v2, s8, 8, v0
	s_mov_b32 s9, exec_lo
	ds_store_b64 v1, v[4:5]
	s_wait_kmcnt 0x0
	v_cmpx_gt_i64_e64 s[4:5], v[2:3]
	s_cbranch_execz .LBB3_4
; %bb.1:
	s_load_b32 s0, s[0:1], 0x18
	s_wait_kmcnt 0x0
	s_lshl_b32 s0, s0, 8
.LBB3_2:                                ; =>This Inner Loop Header: Depth=1
	v_add_nc_u32_e32 v8, 1, v2
	v_lshl_add_u64 v[6:7], v[2:3], 2, s[6:7]
	v_add_nc_u32_e32 v2, s0, v2
	s_clause 0x1
	global_load_b32 v9, v8, s[6:7] scale_offset
	global_load_b32 v10, v[6:7], off
	v_cmp_le_u64_e32 vcc_lo, s[4:5], v[2:3]
	s_or_b32 s10, vcc_lo, s10
	s_wait_loadcnt 0x0
	v_sub_nc_u32_e32 v6, v9, v10
	s_delay_alu instid0(VALU_DEP_1) | instskip(NEXT) | instid1(VALU_DEP_1)
	v_ashrrev_i32_e32 v7, 31, v6
	v_max_i64 v[4:5], v[4:5], v[6:7]
	s_and_not1_b32 exec_lo, exec_lo, s10
	s_cbranch_execnz .LBB3_2
; %bb.3:
	s_or_b32 exec_lo, exec_lo, s10
	ds_store_b64 v1, v[4:5]
.LBB3_4:
	s_or_b32 exec_lo, exec_lo, s9
	s_delay_alu instid0(SALU_CYCLE_1)
	s_mov_b32 s0, exec_lo
	s_wait_dscnt 0x0
	s_barrier_signal -1
	s_barrier_wait -1
	v_cmpx_gt_u32_e32 0x80, v0
	s_cbranch_execz .LBB3_6
; %bb.5:
	ds_load_2addr_stride64_b64 v[2:5], v1 offset1:2
	s_wait_dscnt 0x0
	v_max_i64 v[2:3], v[2:3], v[4:5]
	ds_store_b64 v1, v[2:3]
.LBB3_6:
	s_or_b32 exec_lo, exec_lo, s0
	s_delay_alu instid0(SALU_CYCLE_1)
	s_mov_b32 s0, exec_lo
	s_wait_dscnt 0x0
	s_barrier_signal -1
	s_barrier_wait -1
	v_cmpx_gt_u32_e32 64, v0
	s_cbranch_execz .LBB3_8
; %bb.7:
	ds_load_2addr_stride64_b64 v[2:5], v1 offset1:1
	s_wait_dscnt 0x0
	v_max_i64 v[2:3], v[2:3], v[4:5]
	ds_store_b64 v1, v[2:3]
.LBB3_8:
	s_or_b32 exec_lo, exec_lo, s0
	s_delay_alu instid0(SALU_CYCLE_1)
	s_mov_b32 s0, exec_lo
	s_wait_dscnt 0x0
	s_barrier_signal -1
	s_barrier_wait -1
	v_cmpx_gt_u32_e32 32, v0
	s_cbranch_execz .LBB3_10
; %bb.9:
	ds_load_2addr_b64 v[2:5], v1 offset1:32
	s_wait_dscnt 0x0
	v_max_i64 v[2:3], v[2:3], v[4:5]
	ds_store_b64 v1, v[2:3]
.LBB3_10:
	s_or_b32 exec_lo, exec_lo, s0
	s_delay_alu instid0(SALU_CYCLE_1)
	s_mov_b32 s0, exec_lo
	s_wait_dscnt 0x0
	s_barrier_signal -1
	s_barrier_wait -1
	v_cmpx_gt_u32_e32 16, v0
	s_cbranch_execz .LBB3_12
; %bb.11:
	ds_load_2addr_b64 v[2:5], v1 offset1:16
	s_wait_dscnt 0x0
	v_max_i64 v[2:3], v[2:3], v[4:5]
	ds_store_b64 v1, v[2:3]
.LBB3_12:
	;; [unrolled: 14-line block ×5, first 2 shown]
	s_or_b32 exec_lo, exec_lo, s0
	v_cmp_eq_u32_e32 vcc_lo, 0, v0
	s_wait_dscnt 0x0
	s_barrier_signal -1
	s_barrier_wait -1
	s_and_saveexec_b32 s0, vcc_lo
	s_cbranch_execz .LBB3_20
; %bb.19:
	v_mov_b32_e32 v4, 0
	ds_load_b128 v[0:3], v4
	s_wait_dscnt 0x0
	v_max_i64 v[0:1], v[0:1], v[2:3]
	ds_store_b64 v4, v[0:1]
.LBB3_20:
	s_or_b32 exec_lo, exec_lo, s0
	s_wait_dscnt 0x0
	s_barrier_signal -1
	s_barrier_wait -1
	s_and_saveexec_b32 s0, vcc_lo
	s_cbranch_execz .LBB3_22
; %bb.21:
	v_dual_mov_b32 v0, 0 :: v_dual_mov_b32 v2, s8
	ds_load_b64 v[0:1], v0
	s_wait_dscnt 0x0
	global_store_b64 v2, v[0:1], s[2:3] scale_offset
.LBB3_22:
	s_endpgm
	.section	.rodata,"a",@progbits
	.p2align	6, 0x0
	.amdhsa_kernel _ZN9rocsparseL22ell_width_kernel_part1ILj256EilEEvT1_PKT0_PS1_
		.amdhsa_group_segment_fixed_size 2048
		.amdhsa_private_segment_fixed_size 0
		.amdhsa_kernarg_size 280
		.amdhsa_user_sgpr_count 2
		.amdhsa_user_sgpr_dispatch_ptr 0
		.amdhsa_user_sgpr_queue_ptr 0
		.amdhsa_user_sgpr_kernarg_segment_ptr 1
		.amdhsa_user_sgpr_dispatch_id 0
		.amdhsa_user_sgpr_kernarg_preload_length 0
		.amdhsa_user_sgpr_kernarg_preload_offset 0
		.amdhsa_user_sgpr_private_segment_size 0
		.amdhsa_wavefront_size32 1
		.amdhsa_uses_dynamic_stack 0
		.amdhsa_enable_private_segment 0
		.amdhsa_system_sgpr_workgroup_id_x 1
		.amdhsa_system_sgpr_workgroup_id_y 0
		.amdhsa_system_sgpr_workgroup_id_z 0
		.amdhsa_system_sgpr_workgroup_info 0
		.amdhsa_system_vgpr_workitem_id 0
		.amdhsa_next_free_vgpr 11
		.amdhsa_next_free_sgpr 11
		.amdhsa_named_barrier_count 0
		.amdhsa_reserve_vcc 1
		.amdhsa_float_round_mode_32 0
		.amdhsa_float_round_mode_16_64 0
		.amdhsa_float_denorm_mode_32 3
		.amdhsa_float_denorm_mode_16_64 3
		.amdhsa_fp16_overflow 0
		.amdhsa_memory_ordered 1
		.amdhsa_forward_progress 1
		.amdhsa_inst_pref_size 7
		.amdhsa_round_robin_scheduling 0
		.amdhsa_exception_fp_ieee_invalid_op 0
		.amdhsa_exception_fp_denorm_src 0
		.amdhsa_exception_fp_ieee_div_zero 0
		.amdhsa_exception_fp_ieee_overflow 0
		.amdhsa_exception_fp_ieee_underflow 0
		.amdhsa_exception_fp_ieee_inexact 0
		.amdhsa_exception_int_div_zero 0
	.end_amdhsa_kernel
	.section	.text._ZN9rocsparseL22ell_width_kernel_part1ILj256EilEEvT1_PKT0_PS1_,"axG",@progbits,_ZN9rocsparseL22ell_width_kernel_part1ILj256EilEEvT1_PKT0_PS1_,comdat
.Lfunc_end3:
	.size	_ZN9rocsparseL22ell_width_kernel_part1ILj256EilEEvT1_PKT0_PS1_, .Lfunc_end3-_ZN9rocsparseL22ell_width_kernel_part1ILj256EilEEvT1_PKT0_PS1_
                                        ; -- End function
	.set _ZN9rocsparseL22ell_width_kernel_part1ILj256EilEEvT1_PKT0_PS1_.num_vgpr, 11
	.set _ZN9rocsparseL22ell_width_kernel_part1ILj256EilEEvT1_PKT0_PS1_.num_agpr, 0
	.set _ZN9rocsparseL22ell_width_kernel_part1ILj256EilEEvT1_PKT0_PS1_.numbered_sgpr, 11
	.set _ZN9rocsparseL22ell_width_kernel_part1ILj256EilEEvT1_PKT0_PS1_.num_named_barrier, 0
	.set _ZN9rocsparseL22ell_width_kernel_part1ILj256EilEEvT1_PKT0_PS1_.private_seg_size, 0
	.set _ZN9rocsparseL22ell_width_kernel_part1ILj256EilEEvT1_PKT0_PS1_.uses_vcc, 1
	.set _ZN9rocsparseL22ell_width_kernel_part1ILj256EilEEvT1_PKT0_PS1_.uses_flat_scratch, 0
	.set _ZN9rocsparseL22ell_width_kernel_part1ILj256EilEEvT1_PKT0_PS1_.has_dyn_sized_stack, 0
	.set _ZN9rocsparseL22ell_width_kernel_part1ILj256EilEEvT1_PKT0_PS1_.has_recursion, 0
	.set _ZN9rocsparseL22ell_width_kernel_part1ILj256EilEEvT1_PKT0_PS1_.has_indirect_call, 0
	.section	.AMDGPU.csdata,"",@progbits
; Kernel info:
; codeLenInByte = 772
; TotalNumSgprs: 13
; NumVgprs: 11
; ScratchSize: 0
; MemoryBound: 0
; FloatMode: 240
; IeeeMode: 1
; LDSByteSize: 2048 bytes/workgroup (compile time only)
; SGPRBlocks: 0
; VGPRBlocks: 0
; NumSGPRsForWavesPerEU: 13
; NumVGPRsForWavesPerEU: 11
; NamedBarCnt: 0
; Occupancy: 16
; WaveLimiterHint : 0
; COMPUTE_PGM_RSRC2:SCRATCH_EN: 0
; COMPUTE_PGM_RSRC2:USER_SGPR: 2
; COMPUTE_PGM_RSRC2:TRAP_HANDLER: 0
; COMPUTE_PGM_RSRC2:TGID_X_EN: 1
; COMPUTE_PGM_RSRC2:TGID_Y_EN: 0
; COMPUTE_PGM_RSRC2:TGID_Z_EN: 0
; COMPUTE_PGM_RSRC2:TIDIG_COMP_CNT: 0
	.section	.text._ZN9rocsparseL22ell_width_kernel_part2ILj256ElEEvT0_PS1_,"axG",@progbits,_ZN9rocsparseL22ell_width_kernel_part2ILj256ElEEvT0_PS1_,comdat
	.globl	_ZN9rocsparseL22ell_width_kernel_part2ILj256ElEEvT0_PS1_ ; -- Begin function _ZN9rocsparseL22ell_width_kernel_part2ILj256ElEEvT0_PS1_
	.p2align	8
	.type	_ZN9rocsparseL22ell_width_kernel_part2ILj256ElEEvT0_PS1_,@function
_ZN9rocsparseL22ell_width_kernel_part2ILj256ElEEvT0_PS1_: ; @_ZN9rocsparseL22ell_width_kernel_part2ILj256ElEEvT0_PS1_
; %bb.0:
	s_load_b128 s[0:3], s[0:1], 0x0
	v_dual_mov_b32 v3, 0 :: v_dual_lshlrev_b32 v8, 3, v0
	v_mov_b64_e32 v[4:5], 0
	s_mov_b32 s4, exec_lo
	s_delay_alu instid0(VALU_DEP_2)
	v_mov_b32_e32 v1, v3
	ds_store_b64 v8, v[4:5]
	s_wait_kmcnt 0x0
	v_cmpx_gt_i64_e64 s[0:1], v[0:1]
	s_cbranch_execz .LBB4_4
; %bb.1:
	v_mov_b64_e32 v[6:7], v[0:1]
	v_or_b32_e32 v2, 0x100, v0
	s_mov_b32 s5, 0
.LBB4_2:                                ; =>This Inner Loop Header: Depth=1
	s_delay_alu instid0(VALU_DEP_2) | instskip(NEXT) | instid1(VALU_DEP_2)
	v_lshl_add_u64 v[6:7], v[6:7], 3, s[2:3]
	v_cmp_le_u64_e32 vcc_lo, s[0:1], v[2:3]
	global_load_b64 v[6:7], v[6:7], off
	s_or_b32 s5, vcc_lo, s5
	s_wait_loadcnt 0x0
	v_max_i64 v[4:5], v[4:5], v[6:7]
	v_mov_b64_e32 v[6:7], v[2:3]
	v_add_nc_u32_e32 v2, 0x100, v2
	s_and_not1_b32 exec_lo, exec_lo, s5
	s_cbranch_execnz .LBB4_2
; %bb.3:
	s_or_b32 exec_lo, exec_lo, s5
	ds_store_b64 v8, v[4:5]
.LBB4_4:
	s_or_b32 exec_lo, exec_lo, s4
	s_delay_alu instid0(SALU_CYCLE_1)
	s_mov_b32 s0, exec_lo
	s_wait_dscnt 0x0
	s_barrier_signal -1
	s_barrier_wait -1
	v_cmpx_gt_u32_e32 0x80, v0
	s_cbranch_execz .LBB4_6
; %bb.5:
	ds_load_2addr_stride64_b64 v[2:5], v8 offset1:2
	s_wait_dscnt 0x0
	v_max_i64 v[2:3], v[2:3], v[4:5]
	ds_store_b64 v8, v[2:3]
.LBB4_6:
	s_or_b32 exec_lo, exec_lo, s0
	s_delay_alu instid0(SALU_CYCLE_1)
	s_mov_b32 s0, exec_lo
	s_wait_dscnt 0x0
	s_barrier_signal -1
	s_barrier_wait -1
	v_cmpx_gt_u32_e32 64, v0
	s_cbranch_execz .LBB4_8
; %bb.7:
	ds_load_2addr_stride64_b64 v[2:5], v8 offset1:1
	s_wait_dscnt 0x0
	v_max_i64 v[2:3], v[2:3], v[4:5]
	ds_store_b64 v8, v[2:3]
.LBB4_8:
	s_or_b32 exec_lo, exec_lo, s0
	s_delay_alu instid0(SALU_CYCLE_1)
	s_mov_b32 s0, exec_lo
	s_wait_dscnt 0x0
	s_barrier_signal -1
	s_barrier_wait -1
	v_cmpx_gt_u32_e32 32, v0
	s_cbranch_execz .LBB4_10
; %bb.9:
	ds_load_2addr_b64 v[2:5], v8 offset1:32
	s_wait_dscnt 0x0
	v_max_i64 v[2:3], v[2:3], v[4:5]
	ds_store_b64 v8, v[2:3]
.LBB4_10:
	s_or_b32 exec_lo, exec_lo, s0
	s_delay_alu instid0(SALU_CYCLE_1)
	s_mov_b32 s0, exec_lo
	s_wait_dscnt 0x0
	s_barrier_signal -1
	s_barrier_wait -1
	v_cmpx_gt_u32_e32 16, v0
	s_cbranch_execz .LBB4_12
; %bb.11:
	ds_load_2addr_b64 v[2:5], v8 offset1:16
	s_wait_dscnt 0x0
	v_max_i64 v[2:3], v[2:3], v[4:5]
	ds_store_b64 v8, v[2:3]
.LBB4_12:
	;; [unrolled: 14-line block ×5, first 2 shown]
	s_or_b32 exec_lo, exec_lo, s0
	v_cmp_eq_u32_e32 vcc_lo, 0, v0
	s_wait_dscnt 0x0
	s_barrier_signal -1
	s_barrier_wait -1
	s_and_saveexec_b32 s0, vcc_lo
	s_cbranch_execz .LBB4_20
; %bb.19:
	v_mov_b32_e32 v4, 0
	ds_load_b128 v[0:3], v4
	s_wait_dscnt 0x0
	v_max_i64 v[0:1], v[0:1], v[2:3]
	ds_store_b64 v4, v[0:1]
.LBB4_20:
	s_or_b32 exec_lo, exec_lo, s0
	s_wait_dscnt 0x0
	s_barrier_signal -1
	s_barrier_wait -1
	s_and_saveexec_b32 s0, vcc_lo
	s_cbranch_execz .LBB4_22
; %bb.21:
	v_mov_b32_e32 v2, 0
	ds_load_b64 v[0:1], v2
	s_wait_dscnt 0x0
	global_store_b64 v2, v[0:1], s[2:3]
.LBB4_22:
	s_endpgm
	.section	.rodata,"a",@progbits
	.p2align	6, 0x0
	.amdhsa_kernel _ZN9rocsparseL22ell_width_kernel_part2ILj256ElEEvT0_PS1_
		.amdhsa_group_segment_fixed_size 2048
		.amdhsa_private_segment_fixed_size 0
		.amdhsa_kernarg_size 16
		.amdhsa_user_sgpr_count 2
		.amdhsa_user_sgpr_dispatch_ptr 0
		.amdhsa_user_sgpr_queue_ptr 0
		.amdhsa_user_sgpr_kernarg_segment_ptr 1
		.amdhsa_user_sgpr_dispatch_id 0
		.amdhsa_user_sgpr_kernarg_preload_length 0
		.amdhsa_user_sgpr_kernarg_preload_offset 0
		.amdhsa_user_sgpr_private_segment_size 0
		.amdhsa_wavefront_size32 1
		.amdhsa_uses_dynamic_stack 0
		.amdhsa_enable_private_segment 0
		.amdhsa_system_sgpr_workgroup_id_x 1
		.amdhsa_system_sgpr_workgroup_id_y 0
		.amdhsa_system_sgpr_workgroup_id_z 0
		.amdhsa_system_sgpr_workgroup_info 0
		.amdhsa_system_vgpr_workitem_id 0
		.amdhsa_next_free_vgpr 9
		.amdhsa_next_free_sgpr 6
		.amdhsa_named_barrier_count 0
		.amdhsa_reserve_vcc 1
		.amdhsa_float_round_mode_32 0
		.amdhsa_float_round_mode_16_64 0
		.amdhsa_float_denorm_mode_32 3
		.amdhsa_float_denorm_mode_16_64 3
		.amdhsa_fp16_overflow 0
		.amdhsa_memory_ordered 1
		.amdhsa_forward_progress 1
		.amdhsa_inst_pref_size 6
		.amdhsa_round_robin_scheduling 0
		.amdhsa_exception_fp_ieee_invalid_op 0
		.amdhsa_exception_fp_denorm_src 0
		.amdhsa_exception_fp_ieee_div_zero 0
		.amdhsa_exception_fp_ieee_overflow 0
		.amdhsa_exception_fp_ieee_underflow 0
		.amdhsa_exception_fp_ieee_inexact 0
		.amdhsa_exception_int_div_zero 0
	.end_amdhsa_kernel
	.section	.text._ZN9rocsparseL22ell_width_kernel_part2ILj256ElEEvT0_PS1_,"axG",@progbits,_ZN9rocsparseL22ell_width_kernel_part2ILj256ElEEvT0_PS1_,comdat
.Lfunc_end4:
	.size	_ZN9rocsparseL22ell_width_kernel_part2ILj256ElEEvT0_PS1_, .Lfunc_end4-_ZN9rocsparseL22ell_width_kernel_part2ILj256ElEEvT0_PS1_
                                        ; -- End function
	.set _ZN9rocsparseL22ell_width_kernel_part2ILj256ElEEvT0_PS1_.num_vgpr, 9
	.set _ZN9rocsparseL22ell_width_kernel_part2ILj256ElEEvT0_PS1_.num_agpr, 0
	.set _ZN9rocsparseL22ell_width_kernel_part2ILj256ElEEvT0_PS1_.numbered_sgpr, 6
	.set _ZN9rocsparseL22ell_width_kernel_part2ILj256ElEEvT0_PS1_.num_named_barrier, 0
	.set _ZN9rocsparseL22ell_width_kernel_part2ILj256ElEEvT0_PS1_.private_seg_size, 0
	.set _ZN9rocsparseL22ell_width_kernel_part2ILj256ElEEvT0_PS1_.uses_vcc, 1
	.set _ZN9rocsparseL22ell_width_kernel_part2ILj256ElEEvT0_PS1_.uses_flat_scratch, 0
	.set _ZN9rocsparseL22ell_width_kernel_part2ILj256ElEEvT0_PS1_.has_dyn_sized_stack, 0
	.set _ZN9rocsparseL22ell_width_kernel_part2ILj256ElEEvT0_PS1_.has_recursion, 0
	.set _ZN9rocsparseL22ell_width_kernel_part2ILj256ElEEvT0_PS1_.has_indirect_call, 0
	.section	.AMDGPU.csdata,"",@progbits
; Kernel info:
; codeLenInByte = 688
; TotalNumSgprs: 8
; NumVgprs: 9
; ScratchSize: 0
; MemoryBound: 0
; FloatMode: 240
; IeeeMode: 1
; LDSByteSize: 2048 bytes/workgroup (compile time only)
; SGPRBlocks: 0
; VGPRBlocks: 0
; NumSGPRsForWavesPerEU: 8
; NumVGPRsForWavesPerEU: 9
; NamedBarCnt: 0
; Occupancy: 16
; WaveLimiterHint : 0
; COMPUTE_PGM_RSRC2:SCRATCH_EN: 0
; COMPUTE_PGM_RSRC2:USER_SGPR: 2
; COMPUTE_PGM_RSRC2:TRAP_HANDLER: 0
; COMPUTE_PGM_RSRC2:TGID_X_EN: 1
; COMPUTE_PGM_RSRC2:TGID_Y_EN: 0
; COMPUTE_PGM_RSRC2:TGID_Z_EN: 0
; COMPUTE_PGM_RSRC2:TIDIG_COMP_CNT: 0
	.section	.text._ZN9rocsparseL22ell_width_kernel_part1ILj256EllEEvT1_PKT0_PS1_,"axG",@progbits,_ZN9rocsparseL22ell_width_kernel_part1ILj256EllEEvT1_PKT0_PS1_,comdat
	.globl	_ZN9rocsparseL22ell_width_kernel_part1ILj256EllEEvT1_PKT0_PS1_ ; -- Begin function _ZN9rocsparseL22ell_width_kernel_part1ILj256EllEEvT1_PKT0_PS1_
	.p2align	8
	.type	_ZN9rocsparseL22ell_width_kernel_part1ILj256EllEEvT1_PKT0_PS1_,@function
_ZN9rocsparseL22ell_width_kernel_part1ILj256EllEEvT1_PKT0_PS1_: ; @_ZN9rocsparseL22ell_width_kernel_part1ILj256EllEEvT1_PKT0_PS1_
; %bb.0:
	s_clause 0x1
	s_load_b128 s[4:7], s[0:1], 0x0
	s_load_b64 s[2:3], s[0:1], 0x10
	s_bfe_u32 s8, ttmp6, 0x4000c
	s_and_b32 s9, ttmp6, 15
	s_add_co_i32 s8, s8, 1
	s_getreg_b32 s10, hwreg(HW_REG_IB_STS2, 6, 4)
	s_mul_i32 s8, ttmp9, s8
	v_mov_b64_e32 v[4:5], 0
	s_add_co_i32 s9, s9, s8
	s_cmp_eq_u32 s10, 0
	v_dual_mov_b32 v3, 0 :: v_dual_lshlrev_b32 v1, 3, v0
	s_cselect_b32 s8, ttmp9, s9
	s_mov_b32 s10, 0
	v_lshl_or_b32 v2, s8, 8, v0
	s_mov_b32 s9, exec_lo
	ds_store_b64 v1, v[4:5]
	s_wait_kmcnt 0x0
	v_cmpx_gt_i64_e64 s[4:5], v[2:3]
	s_cbranch_execz .LBB5_4
; %bb.1:
	s_load_b32 s0, s[0:1], 0x18
	s_wait_kmcnt 0x0
	s_lshl_b32 s0, s0, 8
.LBB5_2:                                ; =>This Inner Loop Header: Depth=1
	v_add_nc_u32_e32 v12, 1, v2
	v_lshl_add_u64 v[6:7], v[2:3], 3, s[6:7]
	v_add_nc_u32_e32 v2, s0, v2
	s_clause 0x1
	global_load_b64 v[8:9], v12, s[6:7] scale_offset
	global_load_b64 v[10:11], v[6:7], off
	v_cmp_le_u64_e32 vcc_lo, s[4:5], v[2:3]
	s_or_b32 s10, vcc_lo, s10
	s_wait_loadcnt 0x0
	v_sub_nc_u64_e32 v[6:7], v[8:9], v[10:11]
	s_delay_alu instid0(VALU_DEP_1)
	v_max_i64 v[4:5], v[4:5], v[6:7]
	s_and_not1_b32 exec_lo, exec_lo, s10
	s_cbranch_execnz .LBB5_2
; %bb.3:
	s_or_b32 exec_lo, exec_lo, s10
	ds_store_b64 v1, v[4:5]
.LBB5_4:
	s_or_b32 exec_lo, exec_lo, s9
	s_delay_alu instid0(SALU_CYCLE_1)
	s_mov_b32 s0, exec_lo
	s_wait_dscnt 0x0
	s_barrier_signal -1
	s_barrier_wait -1
	v_cmpx_gt_u32_e32 0x80, v0
	s_cbranch_execz .LBB5_6
; %bb.5:
	ds_load_2addr_stride64_b64 v[2:5], v1 offset1:2
	s_wait_dscnt 0x0
	v_max_i64 v[2:3], v[2:3], v[4:5]
	ds_store_b64 v1, v[2:3]
.LBB5_6:
	s_or_b32 exec_lo, exec_lo, s0
	s_delay_alu instid0(SALU_CYCLE_1)
	s_mov_b32 s0, exec_lo
	s_wait_dscnt 0x0
	s_barrier_signal -1
	s_barrier_wait -1
	v_cmpx_gt_u32_e32 64, v0
	s_cbranch_execz .LBB5_8
; %bb.7:
	ds_load_2addr_stride64_b64 v[2:5], v1 offset1:1
	s_wait_dscnt 0x0
	v_max_i64 v[2:3], v[2:3], v[4:5]
	ds_store_b64 v1, v[2:3]
.LBB5_8:
	s_or_b32 exec_lo, exec_lo, s0
	s_delay_alu instid0(SALU_CYCLE_1)
	s_mov_b32 s0, exec_lo
	s_wait_dscnt 0x0
	s_barrier_signal -1
	s_barrier_wait -1
	v_cmpx_gt_u32_e32 32, v0
	s_cbranch_execz .LBB5_10
; %bb.9:
	ds_load_2addr_b64 v[2:5], v1 offset1:32
	s_wait_dscnt 0x0
	v_max_i64 v[2:3], v[2:3], v[4:5]
	ds_store_b64 v1, v[2:3]
.LBB5_10:
	s_or_b32 exec_lo, exec_lo, s0
	s_delay_alu instid0(SALU_CYCLE_1)
	s_mov_b32 s0, exec_lo
	s_wait_dscnt 0x0
	s_barrier_signal -1
	s_barrier_wait -1
	v_cmpx_gt_u32_e32 16, v0
	s_cbranch_execz .LBB5_12
; %bb.11:
	ds_load_2addr_b64 v[2:5], v1 offset1:16
	s_wait_dscnt 0x0
	v_max_i64 v[2:3], v[2:3], v[4:5]
	ds_store_b64 v1, v[2:3]
.LBB5_12:
	;; [unrolled: 14-line block ×5, first 2 shown]
	s_or_b32 exec_lo, exec_lo, s0
	v_cmp_eq_u32_e32 vcc_lo, 0, v0
	s_wait_dscnt 0x0
	s_barrier_signal -1
	s_barrier_wait -1
	s_and_saveexec_b32 s0, vcc_lo
	s_cbranch_execz .LBB5_20
; %bb.19:
	v_mov_b32_e32 v4, 0
	ds_load_b128 v[0:3], v4
	s_wait_dscnt 0x0
	v_max_i64 v[0:1], v[0:1], v[2:3]
	ds_store_b64 v4, v[0:1]
.LBB5_20:
	s_or_b32 exec_lo, exec_lo, s0
	s_wait_dscnt 0x0
	s_barrier_signal -1
	s_barrier_wait -1
	s_and_saveexec_b32 s0, vcc_lo
	s_cbranch_execz .LBB5_22
; %bb.21:
	v_dual_mov_b32 v0, 0 :: v_dual_mov_b32 v2, s8
	ds_load_b64 v[0:1], v0
	s_wait_dscnt 0x0
	global_store_b64 v2, v[0:1], s[2:3] scale_offset
.LBB5_22:
	s_endpgm
	.section	.rodata,"a",@progbits
	.p2align	6, 0x0
	.amdhsa_kernel _ZN9rocsparseL22ell_width_kernel_part1ILj256EllEEvT1_PKT0_PS1_
		.amdhsa_group_segment_fixed_size 2048
		.amdhsa_private_segment_fixed_size 0
		.amdhsa_kernarg_size 280
		.amdhsa_user_sgpr_count 2
		.amdhsa_user_sgpr_dispatch_ptr 0
		.amdhsa_user_sgpr_queue_ptr 0
		.amdhsa_user_sgpr_kernarg_segment_ptr 1
		.amdhsa_user_sgpr_dispatch_id 0
		.amdhsa_user_sgpr_kernarg_preload_length 0
		.amdhsa_user_sgpr_kernarg_preload_offset 0
		.amdhsa_user_sgpr_private_segment_size 0
		.amdhsa_wavefront_size32 1
		.amdhsa_uses_dynamic_stack 0
		.amdhsa_enable_private_segment 0
		.amdhsa_system_sgpr_workgroup_id_x 1
		.amdhsa_system_sgpr_workgroup_id_y 0
		.amdhsa_system_sgpr_workgroup_id_z 0
		.amdhsa_system_sgpr_workgroup_info 0
		.amdhsa_system_vgpr_workitem_id 0
		.amdhsa_next_free_vgpr 13
		.amdhsa_next_free_sgpr 11
		.amdhsa_named_barrier_count 0
		.amdhsa_reserve_vcc 1
		.amdhsa_float_round_mode_32 0
		.amdhsa_float_round_mode_16_64 0
		.amdhsa_float_denorm_mode_32 3
		.amdhsa_float_denorm_mode_16_64 3
		.amdhsa_fp16_overflow 0
		.amdhsa_memory_ordered 1
		.amdhsa_forward_progress 1
		.amdhsa_inst_pref_size 6
		.amdhsa_round_robin_scheduling 0
		.amdhsa_exception_fp_ieee_invalid_op 0
		.amdhsa_exception_fp_denorm_src 0
		.amdhsa_exception_fp_ieee_div_zero 0
		.amdhsa_exception_fp_ieee_overflow 0
		.amdhsa_exception_fp_ieee_underflow 0
		.amdhsa_exception_fp_ieee_inexact 0
		.amdhsa_exception_int_div_zero 0
	.end_amdhsa_kernel
	.section	.text._ZN9rocsparseL22ell_width_kernel_part1ILj256EllEEvT1_PKT0_PS1_,"axG",@progbits,_ZN9rocsparseL22ell_width_kernel_part1ILj256EllEEvT1_PKT0_PS1_,comdat
.Lfunc_end5:
	.size	_ZN9rocsparseL22ell_width_kernel_part1ILj256EllEEvT1_PKT0_PS1_, .Lfunc_end5-_ZN9rocsparseL22ell_width_kernel_part1ILj256EllEEvT1_PKT0_PS1_
                                        ; -- End function
	.set _ZN9rocsparseL22ell_width_kernel_part1ILj256EllEEvT1_PKT0_PS1_.num_vgpr, 13
	.set _ZN9rocsparseL22ell_width_kernel_part1ILj256EllEEvT1_PKT0_PS1_.num_agpr, 0
	.set _ZN9rocsparseL22ell_width_kernel_part1ILj256EllEEvT1_PKT0_PS1_.numbered_sgpr, 11
	.set _ZN9rocsparseL22ell_width_kernel_part1ILj256EllEEvT1_PKT0_PS1_.num_named_barrier, 0
	.set _ZN9rocsparseL22ell_width_kernel_part1ILj256EllEEvT1_PKT0_PS1_.private_seg_size, 0
	.set _ZN9rocsparseL22ell_width_kernel_part1ILj256EllEEvT1_PKT0_PS1_.uses_vcc, 1
	.set _ZN9rocsparseL22ell_width_kernel_part1ILj256EllEEvT1_PKT0_PS1_.uses_flat_scratch, 0
	.set _ZN9rocsparseL22ell_width_kernel_part1ILj256EllEEvT1_PKT0_PS1_.has_dyn_sized_stack, 0
	.set _ZN9rocsparseL22ell_width_kernel_part1ILj256EllEEvT1_PKT0_PS1_.has_recursion, 0
	.set _ZN9rocsparseL22ell_width_kernel_part1ILj256EllEEvT1_PKT0_PS1_.has_indirect_call, 0
	.section	.AMDGPU.csdata,"",@progbits
; Kernel info:
; codeLenInByte = 768
; TotalNumSgprs: 13
; NumVgprs: 13
; ScratchSize: 0
; MemoryBound: 0
; FloatMode: 240
; IeeeMode: 1
; LDSByteSize: 2048 bytes/workgroup (compile time only)
; SGPRBlocks: 0
; VGPRBlocks: 0
; NumSGPRsForWavesPerEU: 13
; NumVGPRsForWavesPerEU: 13
; NamedBarCnt: 0
; Occupancy: 16
; WaveLimiterHint : 0
; COMPUTE_PGM_RSRC2:SCRATCH_EN: 0
; COMPUTE_PGM_RSRC2:USER_SGPR: 2
; COMPUTE_PGM_RSRC2:TRAP_HANDLER: 0
; COMPUTE_PGM_RSRC2:TGID_X_EN: 1
; COMPUTE_PGM_RSRC2:TGID_Y_EN: 0
; COMPUTE_PGM_RSRC2:TGID_Z_EN: 0
; COMPUTE_PGM_RSRC2:TIDIG_COMP_CNT: 0
	.section	.AMDGPU.gpr_maximums,"",@progbits
	.set amdgpu.max_num_vgpr, 0
	.set amdgpu.max_num_agpr, 0
	.set amdgpu.max_num_sgpr, 0
	.section	.AMDGPU.csdata,"",@progbits
	.type	__hip_cuid_724a5ba7a9e68645,@object ; @__hip_cuid_724a5ba7a9e68645
	.section	.bss,"aw",@nobits
	.globl	__hip_cuid_724a5ba7a9e68645
__hip_cuid_724a5ba7a9e68645:
	.byte	0                               ; 0x0
	.size	__hip_cuid_724a5ba7a9e68645, 1

	.ident	"AMD clang version 22.0.0git (https://github.com/RadeonOpenCompute/llvm-project roc-7.2.4 26084 f58b06dce1f9c15707c5f808fd002e18c2accf7e)"
	.section	".note.GNU-stack","",@progbits
	.addrsig
	.addrsig_sym __hip_cuid_724a5ba7a9e68645
	.amdgpu_metadata
---
amdhsa.kernels:
  - .args:
      - .offset:         0
        .size:           4
        .value_kind:     by_value
      - .address_space:  global
        .offset:         8
        .size:           8
        .value_kind:     global_buffer
      - .address_space:  global
        .offset:         16
        .size:           8
        .value_kind:     global_buffer
      - .offset:         24
        .size:           4
        .value_kind:     hidden_block_count_x
      - .offset:         28
        .size:           4
        .value_kind:     hidden_block_count_y
      - .offset:         32
        .size:           4
        .value_kind:     hidden_block_count_z
      - .offset:         36
        .size:           2
        .value_kind:     hidden_group_size_x
      - .offset:         38
        .size:           2
        .value_kind:     hidden_group_size_y
      - .offset:         40
        .size:           2
        .value_kind:     hidden_group_size_z
      - .offset:         42
        .size:           2
        .value_kind:     hidden_remainder_x
      - .offset:         44
        .size:           2
        .value_kind:     hidden_remainder_y
      - .offset:         46
        .size:           2
        .value_kind:     hidden_remainder_z
      - .offset:         64
        .size:           8
        .value_kind:     hidden_global_offset_x
      - .offset:         72
        .size:           8
        .value_kind:     hidden_global_offset_y
      - .offset:         80
        .size:           8
        .value_kind:     hidden_global_offset_z
      - .offset:         88
        .size:           2
        .value_kind:     hidden_grid_dims
    .group_segment_fixed_size: 1024
    .kernarg_segment_align: 8
    .kernarg_segment_size: 280
    .language:       OpenCL C
    .language_version:
      - 2
      - 0
    .max_flat_workgroup_size: 256
    .name:           _ZN9rocsparseL22ell_width_kernel_part1ILj256EiiEEvT1_PKT0_PS1_
    .private_segment_fixed_size: 0
    .sgpr_count:     12
    .sgpr_spill_count: 0
    .symbol:         _ZN9rocsparseL22ell_width_kernel_part1ILj256EiiEEvT1_PKT0_PS1_.kd
    .uniform_work_group_size: 1
    .uses_dynamic_stack: false
    .vgpr_count:     8
    .vgpr_spill_count: 0
    .wavefront_size: 32
  - .args:
      - .offset:         0
        .size:           4
        .value_kind:     by_value
      - .address_space:  global
        .offset:         8
        .size:           8
        .value_kind:     global_buffer
    .group_segment_fixed_size: 1024
    .kernarg_segment_align: 8
    .kernarg_segment_size: 16
    .language:       OpenCL C
    .language_version:
      - 2
      - 0
    .max_flat_workgroup_size: 256
    .name:           _ZN9rocsparseL22ell_width_kernel_part2ILj256EiEEvT0_PS1_
    .private_segment_fixed_size: 0
    .sgpr_count:     10
    .sgpr_spill_count: 0
    .symbol:         _ZN9rocsparseL22ell_width_kernel_part2ILj256EiEEvT0_PS1_.kd
    .uniform_work_group_size: 1
    .uses_dynamic_stack: false
    .vgpr_count:     16
    .vgpr_spill_count: 0
    .wavefront_size: 32
  - .args:
      - .offset:         0
        .size:           4
        .value_kind:     by_value
      - .address_space:  global
        .offset:         8
        .size:           8
        .value_kind:     global_buffer
      - .address_space:  global
        .offset:         16
        .size:           8
        .value_kind:     global_buffer
      - .offset:         24
        .size:           4
        .value_kind:     hidden_block_count_x
      - .offset:         28
        .size:           4
        .value_kind:     hidden_block_count_y
      - .offset:         32
        .size:           4
        .value_kind:     hidden_block_count_z
      - .offset:         36
        .size:           2
        .value_kind:     hidden_group_size_x
      - .offset:         38
        .size:           2
        .value_kind:     hidden_group_size_y
      - .offset:         40
        .size:           2
        .value_kind:     hidden_group_size_z
      - .offset:         42
        .size:           2
        .value_kind:     hidden_remainder_x
      - .offset:         44
        .size:           2
        .value_kind:     hidden_remainder_y
      - .offset:         46
        .size:           2
        .value_kind:     hidden_remainder_z
      - .offset:         64
        .size:           8
        .value_kind:     hidden_global_offset_x
      - .offset:         72
        .size:           8
        .value_kind:     hidden_global_offset_y
      - .offset:         80
        .size:           8
        .value_kind:     hidden_global_offset_z
      - .offset:         88
        .size:           2
        .value_kind:     hidden_grid_dims
    .group_segment_fixed_size: 1024
    .kernarg_segment_align: 8
    .kernarg_segment_size: 280
    .language:       OpenCL C
    .language_version:
      - 2
      - 0
    .max_flat_workgroup_size: 256
    .name:           _ZN9rocsparseL22ell_width_kernel_part1ILj256EliEEvT1_PKT0_PS1_
    .private_segment_fixed_size: 0
    .sgpr_count:     12
    .sgpr_spill_count: 0
    .symbol:         _ZN9rocsparseL22ell_width_kernel_part1ILj256EliEEvT1_PKT0_PS1_.kd
    .uniform_work_group_size: 1
    .uses_dynamic_stack: false
    .vgpr_count:     10
    .vgpr_spill_count: 0
    .wavefront_size: 32
  - .args:
      - .offset:         0
        .size:           8
        .value_kind:     by_value
      - .address_space:  global
        .offset:         8
        .size:           8
        .value_kind:     global_buffer
      - .address_space:  global
        .offset:         16
        .size:           8
        .value_kind:     global_buffer
      - .offset:         24
        .size:           4
        .value_kind:     hidden_block_count_x
      - .offset:         28
        .size:           4
        .value_kind:     hidden_block_count_y
      - .offset:         32
        .size:           4
        .value_kind:     hidden_block_count_z
      - .offset:         36
        .size:           2
        .value_kind:     hidden_group_size_x
      - .offset:         38
        .size:           2
        .value_kind:     hidden_group_size_y
      - .offset:         40
        .size:           2
        .value_kind:     hidden_group_size_z
      - .offset:         42
        .size:           2
        .value_kind:     hidden_remainder_x
      - .offset:         44
        .size:           2
        .value_kind:     hidden_remainder_y
      - .offset:         46
        .size:           2
        .value_kind:     hidden_remainder_z
      - .offset:         64
        .size:           8
        .value_kind:     hidden_global_offset_x
      - .offset:         72
        .size:           8
        .value_kind:     hidden_global_offset_y
      - .offset:         80
        .size:           8
        .value_kind:     hidden_global_offset_z
      - .offset:         88
        .size:           2
        .value_kind:     hidden_grid_dims
    .group_segment_fixed_size: 2048
    .kernarg_segment_align: 8
    .kernarg_segment_size: 280
    .language:       OpenCL C
    .language_version:
      - 2
      - 0
    .max_flat_workgroup_size: 256
    .name:           _ZN9rocsparseL22ell_width_kernel_part1ILj256EilEEvT1_PKT0_PS1_
    .private_segment_fixed_size: 0
    .sgpr_count:     13
    .sgpr_spill_count: 0
    .symbol:         _ZN9rocsparseL22ell_width_kernel_part1ILj256EilEEvT1_PKT0_PS1_.kd
    .uniform_work_group_size: 1
    .uses_dynamic_stack: false
    .vgpr_count:     11
    .vgpr_spill_count: 0
    .wavefront_size: 32
  - .args:
      - .offset:         0
        .size:           8
        .value_kind:     by_value
      - .address_space:  global
        .offset:         8
        .size:           8
        .value_kind:     global_buffer
    .group_segment_fixed_size: 2048
    .kernarg_segment_align: 8
    .kernarg_segment_size: 16
    .language:       OpenCL C
    .language_version:
      - 2
      - 0
    .max_flat_workgroup_size: 256
    .name:           _ZN9rocsparseL22ell_width_kernel_part2ILj256ElEEvT0_PS1_
    .private_segment_fixed_size: 0
    .sgpr_count:     8
    .sgpr_spill_count: 0
    .symbol:         _ZN9rocsparseL22ell_width_kernel_part2ILj256ElEEvT0_PS1_.kd
    .uniform_work_group_size: 1
    .uses_dynamic_stack: false
    .vgpr_count:     9
    .vgpr_spill_count: 0
    .wavefront_size: 32
  - .args:
      - .offset:         0
        .size:           8
        .value_kind:     by_value
      - .address_space:  global
        .offset:         8
        .size:           8
        .value_kind:     global_buffer
      - .address_space:  global
        .offset:         16
        .size:           8
        .value_kind:     global_buffer
      - .offset:         24
        .size:           4
        .value_kind:     hidden_block_count_x
      - .offset:         28
        .size:           4
        .value_kind:     hidden_block_count_y
      - .offset:         32
        .size:           4
        .value_kind:     hidden_block_count_z
      - .offset:         36
        .size:           2
        .value_kind:     hidden_group_size_x
      - .offset:         38
        .size:           2
        .value_kind:     hidden_group_size_y
      - .offset:         40
        .size:           2
        .value_kind:     hidden_group_size_z
      - .offset:         42
        .size:           2
        .value_kind:     hidden_remainder_x
      - .offset:         44
        .size:           2
        .value_kind:     hidden_remainder_y
      - .offset:         46
        .size:           2
        .value_kind:     hidden_remainder_z
      - .offset:         64
        .size:           8
        .value_kind:     hidden_global_offset_x
      - .offset:         72
        .size:           8
        .value_kind:     hidden_global_offset_y
      - .offset:         80
        .size:           8
        .value_kind:     hidden_global_offset_z
      - .offset:         88
        .size:           2
        .value_kind:     hidden_grid_dims
    .group_segment_fixed_size: 2048
    .kernarg_segment_align: 8
    .kernarg_segment_size: 280
    .language:       OpenCL C
    .language_version:
      - 2
      - 0
    .max_flat_workgroup_size: 256
    .name:           _ZN9rocsparseL22ell_width_kernel_part1ILj256EllEEvT1_PKT0_PS1_
    .private_segment_fixed_size: 0
    .sgpr_count:     13
    .sgpr_spill_count: 0
    .symbol:         _ZN9rocsparseL22ell_width_kernel_part1ILj256EllEEvT1_PKT0_PS1_.kd
    .uniform_work_group_size: 1
    .uses_dynamic_stack: false
    .vgpr_count:     13
    .vgpr_spill_count: 0
    .wavefront_size: 32
amdhsa.target:   amdgcn-amd-amdhsa--gfx1250
amdhsa.version:
  - 1
  - 2
...

	.end_amdgpu_metadata
